;; amdgpu-corpus repo=ROCm/rocFFT kind=compiled arch=gfx1030 opt=O3
	.text
	.amdgcn_target "amdgcn-amd-amdhsa--gfx1030"
	.amdhsa_code_object_version 6
	.protected	fft_rtc_fwd_len968_factors_2_2_2_11_11_wgs_176_tpt_88_sp_op_CI_CI_sbrr_dirReg ; -- Begin function fft_rtc_fwd_len968_factors_2_2_2_11_11_wgs_176_tpt_88_sp_op_CI_CI_sbrr_dirReg
	.globl	fft_rtc_fwd_len968_factors_2_2_2_11_11_wgs_176_tpt_88_sp_op_CI_CI_sbrr_dirReg
	.p2align	8
	.type	fft_rtc_fwd_len968_factors_2_2_2_11_11_wgs_176_tpt_88_sp_op_CI_CI_sbrr_dirReg,@function
fft_rtc_fwd_len968_factors_2_2_2_11_11_wgs_176_tpt_88_sp_op_CI_CI_sbrr_dirReg: ; @fft_rtc_fwd_len968_factors_2_2_2_11_11_wgs_176_tpt_88_sp_op_CI_CI_sbrr_dirReg
; %bb.0:
	s_clause 0x2
	s_load_dwordx4 s[16:19], s[4:5], 0x18
	s_load_dwordx4 s[12:15], s[4:5], 0x0
	;; [unrolled: 1-line block ×3, first 2 shown]
	v_mul_u32_u24_e32 v1, 0x2e9, v0
	v_mov_b32_e32 v3, 0
	s_waitcnt lgkmcnt(0)
	s_load_dwordx2 s[20:21], s[16:17], 0x0
	s_load_dwordx2 s[2:3], s[18:19], 0x0
	v_lshrrev_b32_e32 v26, 16, v1
	v_cmp_lt_u64_e64 s0, s[14:15], 2
	v_mov_b32_e32 v1, 0
	v_mov_b32_e32 v6, v3
	;; [unrolled: 1-line block ×3, first 2 shown]
	v_lshl_add_u32 v5, s6, 1, v26
	s_and_b32 vcc_lo, exec_lo, s0
	s_cbranch_vccnz .LBB0_8
; %bb.1:
	s_load_dwordx2 s[0:1], s[4:5], 0x10
	v_mov_b32_e32 v1, 0
	v_mov_b32_e32 v2, 0
	s_add_u32 s6, s18, 8
	s_addc_u32 s7, s19, 0
	s_add_u32 s22, s16, 8
	s_addc_u32 s23, s17, 0
	v_mov_b32_e32 v29, v2
	v_mov_b32_e32 v28, v1
	s_mov_b64 s[26:27], 1
	s_waitcnt lgkmcnt(0)
	s_add_u32 s24, s0, 8
	s_addc_u32 s25, s1, 0
.LBB0_2:                                ; =>This Inner Loop Header: Depth=1
	s_load_dwordx2 s[28:29], s[24:25], 0x0
                                        ; implicit-def: $vgpr30_vgpr31
	s_mov_b32 s0, exec_lo
	s_waitcnt lgkmcnt(0)
	v_or_b32_e32 v4, s29, v6
	v_cmpx_ne_u64_e32 0, v[3:4]
	s_xor_b32 s1, exec_lo, s0
	s_cbranch_execz .LBB0_4
; %bb.3:                                ;   in Loop: Header=BB0_2 Depth=1
	v_cvt_f32_u32_e32 v4, s28
	v_cvt_f32_u32_e32 v7, s29
	s_sub_u32 s0, 0, s28
	s_subb_u32 s30, 0, s29
	v_fmac_f32_e32 v4, 0x4f800000, v7
	v_rcp_f32_e32 v4, v4
	v_mul_f32_e32 v4, 0x5f7ffffc, v4
	v_mul_f32_e32 v7, 0x2f800000, v4
	v_trunc_f32_e32 v7, v7
	v_fmac_f32_e32 v4, 0xcf800000, v7
	v_cvt_u32_f32_e32 v7, v7
	v_cvt_u32_f32_e32 v4, v4
	v_mul_lo_u32 v8, s0, v7
	v_mul_hi_u32 v9, s0, v4
	v_mul_lo_u32 v10, s30, v4
	v_add_nc_u32_e32 v8, v9, v8
	v_mul_lo_u32 v9, s0, v4
	v_add_nc_u32_e32 v8, v8, v10
	v_mul_hi_u32 v10, v4, v9
	v_mul_lo_u32 v11, v4, v8
	v_mul_hi_u32 v12, v4, v8
	v_mul_hi_u32 v13, v7, v9
	v_mul_lo_u32 v9, v7, v9
	v_mul_hi_u32 v14, v7, v8
	v_mul_lo_u32 v8, v7, v8
	v_add_co_u32 v10, vcc_lo, v10, v11
	v_add_co_ci_u32_e32 v11, vcc_lo, 0, v12, vcc_lo
	v_add_co_u32 v9, vcc_lo, v10, v9
	v_add_co_ci_u32_e32 v9, vcc_lo, v11, v13, vcc_lo
	v_add_co_ci_u32_e32 v10, vcc_lo, 0, v14, vcc_lo
	v_add_co_u32 v8, vcc_lo, v9, v8
	v_add_co_ci_u32_e32 v9, vcc_lo, 0, v10, vcc_lo
	v_add_co_u32 v4, vcc_lo, v4, v8
	v_add_co_ci_u32_e32 v7, vcc_lo, v7, v9, vcc_lo
	v_mul_hi_u32 v8, s0, v4
	v_mul_lo_u32 v10, s30, v4
	v_mul_lo_u32 v9, s0, v7
	v_add_nc_u32_e32 v8, v8, v9
	v_mul_lo_u32 v9, s0, v4
	v_add_nc_u32_e32 v8, v8, v10
	v_mul_hi_u32 v10, v4, v9
	v_mul_lo_u32 v11, v4, v8
	v_mul_hi_u32 v12, v4, v8
	v_mul_hi_u32 v13, v7, v9
	v_mul_lo_u32 v9, v7, v9
	v_mul_hi_u32 v14, v7, v8
	v_mul_lo_u32 v8, v7, v8
	v_add_co_u32 v10, vcc_lo, v10, v11
	v_add_co_ci_u32_e32 v11, vcc_lo, 0, v12, vcc_lo
	v_add_co_u32 v9, vcc_lo, v10, v9
	v_add_co_ci_u32_e32 v9, vcc_lo, v11, v13, vcc_lo
	v_add_co_ci_u32_e32 v10, vcc_lo, 0, v14, vcc_lo
	v_add_co_u32 v8, vcc_lo, v9, v8
	v_add_co_ci_u32_e32 v9, vcc_lo, 0, v10, vcc_lo
	v_add_co_u32 v4, vcc_lo, v4, v8
	v_add_co_ci_u32_e32 v11, vcc_lo, v7, v9, vcc_lo
	v_mul_hi_u32 v13, v5, v4
	v_mad_u64_u32 v[9:10], null, v6, v4, 0
	v_mad_u64_u32 v[7:8], null, v5, v11, 0
	;; [unrolled: 1-line block ×3, first 2 shown]
	v_add_co_u32 v4, vcc_lo, v13, v7
	v_add_co_ci_u32_e32 v7, vcc_lo, 0, v8, vcc_lo
	v_add_co_u32 v4, vcc_lo, v4, v9
	v_add_co_ci_u32_e32 v4, vcc_lo, v7, v10, vcc_lo
	v_add_co_ci_u32_e32 v7, vcc_lo, 0, v12, vcc_lo
	v_add_co_u32 v4, vcc_lo, v4, v11
	v_add_co_ci_u32_e32 v9, vcc_lo, 0, v7, vcc_lo
	v_mul_lo_u32 v10, s29, v4
	v_mad_u64_u32 v[7:8], null, s28, v4, 0
	v_mul_lo_u32 v11, s28, v9
	v_sub_co_u32 v7, vcc_lo, v5, v7
	v_add3_u32 v8, v8, v11, v10
	v_sub_nc_u32_e32 v10, v6, v8
	v_subrev_co_ci_u32_e64 v10, s0, s29, v10, vcc_lo
	v_add_co_u32 v11, s0, v4, 2
	v_add_co_ci_u32_e64 v12, s0, 0, v9, s0
	v_sub_co_u32 v13, s0, v7, s28
	v_sub_co_ci_u32_e32 v8, vcc_lo, v6, v8, vcc_lo
	v_subrev_co_ci_u32_e64 v10, s0, 0, v10, s0
	v_cmp_le_u32_e32 vcc_lo, s28, v13
	v_cmp_eq_u32_e64 s0, s29, v8
	v_cndmask_b32_e64 v13, 0, -1, vcc_lo
	v_cmp_le_u32_e32 vcc_lo, s29, v10
	v_cndmask_b32_e64 v14, 0, -1, vcc_lo
	v_cmp_le_u32_e32 vcc_lo, s28, v7
	v_cndmask_b32_e64 v7, 0, -1, vcc_lo
	v_cmp_le_u32_e32 vcc_lo, s29, v8
	v_cndmask_b32_e64 v15, 0, -1, vcc_lo
	v_cmp_eq_u32_e32 vcc_lo, s29, v10
	v_cndmask_b32_e64 v7, v15, v7, s0
	v_cndmask_b32_e32 v10, v14, v13, vcc_lo
	v_add_co_u32 v13, vcc_lo, v4, 1
	v_add_co_ci_u32_e32 v14, vcc_lo, 0, v9, vcc_lo
	v_cmp_ne_u32_e32 vcc_lo, 0, v10
	v_cndmask_b32_e32 v8, v14, v12, vcc_lo
	v_cndmask_b32_e32 v10, v13, v11, vcc_lo
	v_cmp_ne_u32_e32 vcc_lo, 0, v7
	v_cndmask_b32_e32 v31, v9, v8, vcc_lo
	v_cndmask_b32_e32 v30, v4, v10, vcc_lo
.LBB0_4:                                ;   in Loop: Header=BB0_2 Depth=1
	s_andn2_saveexec_b32 s0, s1
	s_cbranch_execz .LBB0_6
; %bb.5:                                ;   in Loop: Header=BB0_2 Depth=1
	v_cvt_f32_u32_e32 v4, s28
	s_sub_i32 s1, 0, s28
	v_mov_b32_e32 v31, v3
	v_rcp_iflag_f32_e32 v4, v4
	v_mul_f32_e32 v4, 0x4f7ffffe, v4
	v_cvt_u32_f32_e32 v4, v4
	v_mul_lo_u32 v7, s1, v4
	v_mul_hi_u32 v7, v4, v7
	v_add_nc_u32_e32 v4, v4, v7
	v_mul_hi_u32 v4, v5, v4
	v_mul_lo_u32 v7, v4, s28
	v_add_nc_u32_e32 v8, 1, v4
	v_sub_nc_u32_e32 v7, v5, v7
	v_subrev_nc_u32_e32 v9, s28, v7
	v_cmp_le_u32_e32 vcc_lo, s28, v7
	v_cndmask_b32_e32 v7, v7, v9, vcc_lo
	v_cndmask_b32_e32 v4, v4, v8, vcc_lo
	v_cmp_le_u32_e32 vcc_lo, s28, v7
	v_add_nc_u32_e32 v8, 1, v4
	v_cndmask_b32_e32 v30, v4, v8, vcc_lo
.LBB0_6:                                ;   in Loop: Header=BB0_2 Depth=1
	s_or_b32 exec_lo, exec_lo, s0
	v_mul_lo_u32 v4, v31, s28
	v_mul_lo_u32 v9, v30, s29
	s_load_dwordx2 s[0:1], s[22:23], 0x0
	v_mad_u64_u32 v[7:8], null, v30, s28, 0
	s_load_dwordx2 s[28:29], s[6:7], 0x0
	s_add_u32 s26, s26, 1
	s_addc_u32 s27, s27, 0
	s_add_u32 s6, s6, 8
	s_addc_u32 s7, s7, 0
	s_add_u32 s22, s22, 8
	v_add3_u32 v4, v8, v9, v4
	v_sub_co_u32 v5, vcc_lo, v5, v7
	s_addc_u32 s23, s23, 0
	s_add_u32 s24, s24, 8
	v_sub_co_ci_u32_e32 v4, vcc_lo, v6, v4, vcc_lo
	s_addc_u32 s25, s25, 0
	s_waitcnt lgkmcnt(0)
	v_mul_lo_u32 v6, s0, v4
	v_mul_lo_u32 v7, s1, v5
	v_mad_u64_u32 v[1:2], null, s0, v5, v[1:2]
	v_mul_lo_u32 v4, s28, v4
	v_mul_lo_u32 v8, s29, v5
	v_mad_u64_u32 v[28:29], null, s28, v5, v[28:29]
	v_cmp_ge_u64_e64 s0, s[26:27], s[14:15]
	v_add3_u32 v2, v7, v2, v6
	v_add3_u32 v29, v8, v29, v4
	s_and_b32 vcc_lo, exec_lo, s0
	s_cbranch_vccnz .LBB0_9
; %bb.7:                                ;   in Loop: Header=BB0_2 Depth=1
	v_mov_b32_e32 v5, v30
	v_mov_b32_e32 v6, v31
	s_branch .LBB0_2
.LBB0_8:
	v_mov_b32_e32 v29, v2
	v_mov_b32_e32 v31, v6
	;; [unrolled: 1-line block ×4, first 2 shown]
.LBB0_9:
	s_load_dwordx2 s[0:1], s[4:5], 0x28
	v_mul_hi_u32 v4, 0x2e8ba2f, v0
	s_lshl_b64 s[6:7], s[14:15], 3
                                        ; implicit-def: $sgpr14
                                        ; implicit-def: $sgpr15
                                        ; implicit-def: $vgpr39
                                        ; implicit-def: $vgpr27
                                        ; implicit-def: $vgpr32
                                        ; implicit-def: $vgpr33
                                        ; implicit-def: $vgpr34
	s_add_u32 s4, s18, s6
	s_addc_u32 s5, s19, s7
	s_waitcnt lgkmcnt(0)
	v_cmp_gt_u64_e32 vcc_lo, s[0:1], v[30:31]
	v_cmp_le_u64_e64 s0, s[0:1], v[30:31]
	s_and_saveexec_b32 s1, s0
	s_xor_b32 s0, exec_lo, s1
; %bb.10:
	v_mul_u32_u24_e32 v1, 0x58, v4
	s_mov_b32 s15, 0
	s_mov_b32 s14, 0
                                        ; implicit-def: $vgpr4
	v_sub_nc_u32_e32 v39, v0, v1
                                        ; implicit-def: $vgpr0
                                        ; implicit-def: $vgpr1_vgpr2
	v_add_nc_u32_e32 v27, 0x58, v39
	v_add_nc_u32_e32 v32, 0xb0, v39
	;; [unrolled: 1-line block ×4, first 2 shown]
; %bb.11:
	s_or_saveexec_b32 s1, s0
	s_load_dwordx2 s[4:5], s[4:5], 0x0
	v_mov_b32_e32 v13, s15
	v_mov_b32_e32 v38, s14
	;; [unrolled: 1-line block ×3, first 2 shown]
                                        ; implicit-def: $vgpr5
                                        ; implicit-def: $vgpr9
                                        ; implicit-def: $vgpr3
                                        ; implicit-def: $vgpr7
                                        ; implicit-def: $vgpr11
                                        ; implicit-def: $vgpr21
                                        ; implicit-def: $vgpr17
                                        ; implicit-def: $vgpr15
                                        ; implicit-def: $vgpr25
                                        ; implicit-def: $vgpr19
                                        ; implicit-def: $vgpr23
	s_xor_b32 exec_lo, exec_lo, s1
	s_cbranch_execz .LBB0_15
; %bb.12:
	s_add_u32 s6, s16, s6
	s_addc_u32 s7, s17, s7
	v_mul_u32_u24_e32 v3, 0x58, v4
	s_load_dwordx2 s[6:7], s[6:7], 0x0
	v_sub_nc_u32_e32 v39, v0, v3
	v_lshlrev_b64 v[0:1], 3, v[1:2]
	v_add_nc_u32_e32 v15, 0x1e4, v39
	v_mad_u64_u32 v[2:3], null, s20, v39, 0
	v_add_nc_u32_e32 v27, 0x58, v39
	v_add_nc_u32_e32 v17, 0x23c, v39
	v_mad_u64_u32 v[4:5], null, s20, v15, 0
	v_add_nc_u32_e32 v32, 0xb0, v39
	v_mad_u64_u32 v[6:7], null, s20, v27, 0
	v_mad_u64_u32 v[10:11], null, s20, v17, 0
	s_waitcnt lgkmcnt(0)
	v_mul_lo_u32 v16, s7, v30
	v_mul_lo_u32 v18, s6, v31
	v_mad_u64_u32 v[8:9], null, s6, v30, 0
	v_mad_u64_u32 v[12:13], null, s21, v39, v[3:4]
	v_mov_b32_e32 v3, v5
	v_mov_b32_e32 v5, v7
	;; [unrolled: 1-line block ×3, first 2 shown]
	v_mad_u64_u32 v[13:14], null, s20, v32, 0
	v_add3_u32 v9, v9, v18, v16
	v_mad_u64_u32 v[15:16], null, s21, v15, v[3:4]
	v_mov_b32_e32 v3, v12
	v_mad_u64_u32 v[11:12], null, s21, v27, v[5:6]
	v_lshlrev_b64 v[8:9], 3, v[8:9]
	v_add_nc_u32_e32 v12, 0x294, v39
	v_lshlrev_b64 v[2:3], 3, v[2:3]
	v_mov_b32_e32 v5, v15
	v_add_nc_u32_e32 v33, 0x108, v39
	v_add_nc_u32_e32 v22, 0x2ec, v39
	v_mad_u64_u32 v[16:17], null, s21, v17, v[7:8]
	v_add_co_u32 v7, s0, s8, v8
	v_add_co_ci_u32_e64 v8, s0, s9, v9, s0
	v_lshlrev_b64 v[4:5], 3, v[4:5]
	v_add_co_u32 v0, s0, v7, v0
	v_add_co_ci_u32_e64 v1, s0, v8, v1, s0
	v_mov_b32_e32 v7, v11
	v_add_co_u32 v2, s0, v0, v2
	v_add_co_ci_u32_e64 v3, s0, v1, v3, s0
	v_add_co_u32 v8, s0, v0, v4
	v_add_co_ci_u32_e64 v9, s0, v1, v5, s0
	v_lshlrev_b64 v[5:6], 3, v[6:7]
	v_mov_b32_e32 v4, v14
	v_mov_b32_e32 v11, v16
	v_add_nc_u32_e32 v34, 0x160, v39
	v_add_nc_u32_e32 v35, 0x344, v39
	s_mov_b32 s6, exec_lo
	v_mad_u64_u32 v[14:15], null, s21, v32, v[4:5]
	v_mad_u64_u32 v[15:16], null, s20, v12, 0
	v_lshlrev_b64 v[10:11], 3, v[10:11]
	v_add_co_u32 v17, s0, v0, v5
	v_add_co_ci_u32_e64 v18, s0, v1, v6, s0
	v_mov_b32_e32 v4, v16
	v_add_co_u32 v6, s0, v0, v10
	v_add_co_ci_u32_e64 v7, s0, v1, v11, s0
	v_mad_u64_u32 v[19:20], null, s21, v12, v[4:5]
	v_mad_u64_u32 v[10:11], null, s20, v33, 0
	v_mad_u64_u32 v[20:21], null, s20, v22, 0
	v_lshlrev_b64 v[12:13], 3, v[13:14]
	s_clause 0x3
	global_load_dwordx2 v[4:5], v[2:3], off
	global_load_dwordx2 v[8:9], v[8:9], off
	;; [unrolled: 1-line block ×4, first 2 shown]
	v_mov_b32_e32 v16, v19
	v_mad_u64_u32 v[17:18], null, s21, v33, v[11:12]
	v_mov_b32_e32 v11, v21
	v_mad_u64_u32 v[18:19], null, s20, v34, 0
	v_lshlrev_b64 v[15:16], 3, v[15:16]
	v_mad_u64_u32 v[21:22], null, s21, v22, v[11:12]
	v_mad_u64_u32 v[22:23], null, s20, v35, 0
	v_mov_b32_e32 v14, v19
	v_add_co_u32 v12, s0, v0, v12
	v_add_co_ci_u32_e64 v13, s0, v1, v13, s0
	v_mad_u64_u32 v[24:25], null, s21, v34, v[14:15]
	v_mov_b32_e32 v14, v23
	v_add_co_u32 v15, s0, v0, v15
	v_mov_b32_e32 v11, v17
	v_lshlrev_b64 v[20:21], 3, v[20:21]
	v_add_co_ci_u32_e64 v16, s0, v1, v16, s0
	v_mad_u64_u32 v[35:36], null, s21, v35, v[14:15]
	v_lshlrev_b64 v[10:11], 3, v[10:11]
	v_mov_b32_e32 v19, v24
	v_add_co_u32 v24, s0, v0, v10
	v_mov_b32_e32 v23, v35
	v_add_co_ci_u32_e64 v25, s0, v1, v11, s0
	v_lshlrev_b64 v[10:11], 3, v[18:19]
	v_add_co_u32 v18, s0, v0, v20
	v_add_co_ci_u32_e64 v19, s0, v1, v21, s0
	v_lshlrev_b64 v[20:21], 3, v[22:23]
	v_add_co_u32 v35, s0, v0, v10
	v_add_co_ci_u32_e64 v36, s0, v1, v11, s0
	v_add_co_u32 v37, s0, v0, v20
	v_add_co_ci_u32_e64 v38, s0, v1, v21, s0
	s_clause 0x5
	global_load_dwordx2 v[10:11], v[12:13], off
	global_load_dwordx2 v[20:21], v[15:16], off
	;; [unrolled: 1-line block ×6, first 2 shown]
	v_mov_b32_e32 v12, 0
	v_mov_b32_e32 v13, 0
                                        ; implicit-def: $vgpr24
	v_cmpx_gt_u32_e32 44, v39
	s_cbranch_execz .LBB0_14
; %bb.13:
	v_add_nc_u32_e32 v35, 0x1b8, v39
	v_add_nc_u32_e32 v37, 0x39c, v39
	v_mad_u64_u32 v[12:13], null, s20, v35, 0
	v_mad_u64_u32 v[24:25], null, s20, v37, 0
	s_waitcnt vmcnt(1)
	v_mad_u64_u32 v[35:36], null, s21, v35, v[13:14]
	v_mad_u64_u32 v[36:37], null, s21, v37, v[25:26]
	v_mov_b32_e32 v13, v35
	v_mov_b32_e32 v25, v36
	v_lshlrev_b64 v[12:13], 3, v[12:13]
	v_lshlrev_b64 v[24:25], 3, v[24:25]
	v_add_co_u32 v12, s0, v0, v12
	v_add_co_ci_u32_e64 v13, s0, v1, v13, s0
	v_add_co_u32 v0, s0, v0, v24
	v_add_co_ci_u32_e64 v1, s0, v1, v25, s0
	s_clause 0x1
	global_load_dwordx2 v[12:13], v[12:13], off
	global_load_dwordx2 v[24:25], v[0:1], off
.LBB0_14:
	s_or_b32 exec_lo, exec_lo, s6
	v_mov_b32_e32 v38, v39
.LBB0_15:
	s_or_b32 exec_lo, exec_lo, s1
	v_and_b32_e32 v0, 1, v26
	s_waitcnt vmcnt(8)
	v_sub_f32_e32 v35, v4, v8
	v_sub_f32_e32 v36, v5, v9
	s_waitcnt vmcnt(6)
	v_sub_f32_e32 v7, v3, v7
	s_waitcnt vmcnt(4)
	v_sub_f32_e32 v20, v10, v20
	v_cmp_eq_u32_e64 s0, 1, v0
	v_sub_f32_e32 v21, v11, v21
	v_lshlrev_b32_e32 v1, 4, v39
	v_sub_f32_e32 v6, v2, v6
	v_fma_f32 v40, v4, 2.0, -v35
	v_cndmask_b32_e64 v0, 0, 0x3c8, s0
	v_fma_f32 v41, v5, 2.0, -v36
	v_fma_f32 v43, v3, 2.0, -v7
	;; [unrolled: 1-line block ×4, first 2 shown]
	v_lshlrev_b32_e32 v46, 3, v0
	s_waitcnt vmcnt(0)
	v_sub_f32_e32 v10, v12, v24
	v_sub_f32_e32 v11, v13, v25
	v_lshl_add_u32 v4, v27, 4, 0
	v_lshl_add_u32 v0, v32, 4, 0
	v_add3_u32 v3, 0, v1, v46
	v_sub_f32_e32 v22, v16, v22
	v_sub_f32_e32 v23, v17, v23
	v_lshl_add_u32 v1, v33, 4, 0
	v_fma_f32 v42, v2, 2.0, -v6
	v_sub_f32_e32 v18, v14, v18
	v_sub_f32_e32 v19, v15, v19
	v_lshl_add_u32 v2, v34, 4, 0
	v_fma_f32 v8, v12, 2.0, -v10
	v_fma_f32 v9, v13, 2.0, -v11
	ds_write2_b64 v3, v[40:41], v[35:36] offset1:1
	v_add_nc_u32_e32 v3, v4, v46
	v_add_nc_u32_e32 v24, 0x1b8, v39
	v_cmp_gt_u32_e64 s0, 44, v39
	v_add_nc_u32_e32 v5, v0, v46
	v_fma_f32 v16, v16, 2.0, -v22
	v_fma_f32 v17, v17, 2.0, -v23
	v_add_nc_u32_e32 v12, v1, v46
	v_fma_f32 v14, v14, 2.0, -v18
	v_fma_f32 v15, v15, 2.0, -v19
	v_add_nc_u32_e32 v13, v2, v46
	ds_write2_b64 v3, v[42:43], v[6:7] offset1:1
	ds_write2_b64 v5, v[44:45], v[20:21] offset1:1
	;; [unrolled: 1-line block ×4, first 2 shown]
	s_and_saveexec_b32 s1, s0
	s_cbranch_execz .LBB0_17
; %bb.16:
	v_lshlrev_b32_e32 v3, 4, v24
	v_add3_u32 v3, 0, v3, v46
	ds_write2_b64 v3, v[8:9], v[10:11] offset1:1
.LBB0_17:
	s_or_b32 exec_lo, exec_lo, s1
	v_lshlrev_b32_e32 v6, 3, v32
	v_lshlrev_b32_e32 v3, 3, v39
	;; [unrolled: 1-line block ×5, first 2 shown]
	v_sub_nc_u32_e32 v6, v0, v6
	v_add3_u32 v45, 0, v3, v46
	v_sub_nc_u32_e32 v7, v1, v7
	v_sub_nc_u32_e32 v14, v2, v12
	v_sub_nc_u32_e32 v4, v4, v5
	v_add3_u32 v41, 0, v46, v3
	v_add_nc_u32_e32 v42, v6, v46
	v_add_nc_u32_e32 v3, 0xc00, v45
	;; [unrolled: 1-line block ×6, first 2 shown]
	s_waitcnt lgkmcnt(0)
	s_barrier
	buffer_gl0_inv
	ds_read_b64 v[12:13], v41
	ds_read2_b64 v[0:3], v3 offset0:100 offset1:188
	ds_read_b64 v[16:17], v42
	ds_read2_b64 v[4:7], v5 offset0:148 offset1:236
	ds_read_b64 v[18:19], v44
	ds_read_b64 v[14:15], v40
	;; [unrolled: 1-line block ×3, first 2 shown]
	ds_read_b64 v[22:23], v45 offset:6688
	v_lshlrev_b32_e32 v36, 1, v39
	v_lshlrev_b32_e32 v35, 1, v27
	;; [unrolled: 1-line block ×5, first 2 shown]
	s_and_saveexec_b32 s1, s0
	s_cbranch_execz .LBB0_19
; %bb.18:
	ds_read_b64 v[8:9], v45 offset:3520
	ds_read_b64 v[10:11], v45 offset:7392
.LBB0_19:
	s_or_b32 exec_lo, exec_lo, s1
	v_and_b32_e32 v25, 1, v39
	v_lshlrev_b32_e32 v33, 3, v25
	v_and_or_b32 v34, 0x1fc, v35, v25
	v_and_or_b32 v37, 0x3fc, v32, v25
	;; [unrolled: 1-line block ×4, first 2 shown]
	global_load_dwordx2 v[47:48], v33, s[12:13]
	v_lshlrev_b32_e32 v33, 1, v24
	v_and_or_b32 v24, 0xfc, v36, v25
	v_lshlrev_b32_e32 v34, 3, v34
	v_lshlrev_b32_e32 v37, 3, v37
	v_lshlrev_b32_e32 v49, 3, v49
	v_lshlrev_b32_e32 v50, 3, v50
	v_lshlrev_b32_e32 v24, 3, v24
	v_add3_u32 v34, 0, v34, v46
	v_add3_u32 v37, 0, v37, v46
	v_add3_u32 v49, 0, v49, v46
	v_add3_u32 v50, 0, v50, v46
	v_add3_u32 v24, 0, v24, v46
	s_waitcnt vmcnt(0) lgkmcnt(0)
	s_barrier
	buffer_gl0_inv
	v_mul_f32_e32 v51, v48, v1
	v_mul_f32_e32 v52, v48, v0
	;; [unrolled: 1-line block ×12, first 2 shown]
	v_fma_f32 v0, v47, v0, -v51
	v_fmac_f32_e32 v52, v47, v1
	v_fma_f32 v2, v47, v2, -v53
	v_fma_f32 v10, v10, v47, -v61
	v_fmac_f32_e32 v48, v11, v47
	v_fmac_f32_e32 v54, v47, v3
	v_fma_f32 v4, v47, v4, -v55
	v_fmac_f32_e32 v56, v47, v5
	v_fma_f32 v6, v47, v6, -v57
	;; [unrolled: 2-line block ×3, first 2 shown]
	v_fmac_f32_e32 v60, v47, v23
	v_sub_f32_e32 v0, v12, v0
	v_sub_f32_e32 v1, v13, v52
	;; [unrolled: 1-line block ×12, first 2 shown]
	v_fma_f32 v12, v12, 2.0, -v0
	v_fma_f32 v13, v13, 2.0, -v1
	;; [unrolled: 1-line block ×12, first 2 shown]
	ds_write2_b64 v24, v[12:13], v[0:1] offset1:2
	ds_write2_b64 v34, v[20:21], v[2:3] offset1:2
	;; [unrolled: 1-line block ×5, first 2 shown]
	s_and_saveexec_b32 s1, s0
	s_cbranch_execz .LBB0_21
; %bb.20:
	v_and_or_b32 v0, 0x3fc, v33, v25
	v_lshlrev_b32_e32 v0, 3, v0
	v_add3_u32 v0, 0, v0, v46
	ds_write2_b64 v0, v[8:9], v[10:11] offset1:2
.LBB0_21:
	s_or_b32 exec_lo, exec_lo, s1
	v_add_nc_u32_e32 v0, 0xc00, v45
	v_add_nc_u32_e32 v1, 0x1000, v45
	s_waitcnt lgkmcnt(0)
	s_barrier
	buffer_gl0_inv
	ds_read_b64 v[16:17], v41
	ds_read2_b64 v[4:7], v0 offset0:100 offset1:188
	ds_read_b64 v[12:13], v42
	ds_read2_b64 v[0:3], v1 offset0:148 offset1:236
	ds_read_b64 v[18:19], v44
	ds_read_b64 v[14:15], v40
	ds_read_b64 v[20:21], v43
	ds_read_b64 v[24:25], v45 offset:6688
	s_and_saveexec_b32 s1, s0
	s_cbranch_execz .LBB0_23
; %bb.22:
	ds_read_b64 v[8:9], v45 offset:3520
	ds_read_b64 v[10:11], v45 offset:7392
.LBB0_23:
	s_or_b32 exec_lo, exec_lo, s1
	v_and_b32_e32 v34, 3, v39
	v_lshlrev_b32_e32 v22, 3, v34
	v_and_or_b32 v36, 0xf8, v36, v34
	v_and_or_b32 v35, 0x1f8, v35, v34
	;; [unrolled: 1-line block ×4, first 2 shown]
	global_load_dwordx2 v[22:23], v22, s[12:13] offset:16
	v_and_or_b32 v26, 0x3f8, v26, v34
	v_lshlrev_b32_e32 v36, 3, v36
	v_lshlrev_b32_e32 v35, 3, v35
	;; [unrolled: 1-line block ×5, first 2 shown]
	v_add3_u32 v36, 0, v36, v46
	v_add3_u32 v35, 0, v35, v46
	;; [unrolled: 1-line block ×5, first 2 shown]
	s_waitcnt vmcnt(0) lgkmcnt(0)
	s_barrier
	buffer_gl0_inv
	v_mul_f32_e32 v37, v23, v5
	v_mul_f32_e32 v47, v23, v4
	;; [unrolled: 1-line block ×10, first 2 shown]
	v_fma_f32 v4, v22, v4, -v37
	v_fmac_f32_e32 v47, v22, v5
	v_fma_f32 v5, v22, v6, -v48
	v_fmac_f32_e32 v49, v22, v7
	;; [unrolled: 2-line block ×5, first 2 shown]
	v_sub_f32_e32 v0, v16, v4
	v_sub_f32_e32 v1, v17, v47
	;; [unrolled: 1-line block ×10, first 2 shown]
	v_fma_f32 v16, v16, 2.0, -v0
	v_fma_f32 v17, v17, 2.0, -v1
	;; [unrolled: 1-line block ×10, first 2 shown]
	ds_write2_b64 v36, v[16:17], v[0:1] offset1:4
	ds_write2_b64 v35, v[20:21], v[2:3] offset1:4
	ds_write2_b64 v32, v[12:13], v[4:5] offset1:4
	ds_write2_b64 v27, v[18:19], v[6:7] offset1:4
	ds_write2_b64 v26, v[14:15], v[24:25] offset1:4
	s_and_saveexec_b32 s1, s0
	s_cbranch_execz .LBB0_25
; %bb.24:
	v_mul_f32_e32 v0, v10, v23
	v_mul_f32_e32 v1, v11, v23
	v_and_or_b32 v3, 0x3f8, v33, v34
	v_fmac_f32_e32 v0, v11, v22
	v_fma_f32 v2, v10, v22, -v1
	v_lshlrev_b32_e32 v4, 3, v3
	v_sub_f32_e32 v1, v9, v0
	v_sub_f32_e32 v0, v8, v2
	v_add3_u32 v4, 0, v4, v46
	v_fma_f32 v3, v9, 2.0, -v1
	v_fma_f32 v2, v8, 2.0, -v0
	ds_write2_b64 v4, v[2:3], v[0:1] offset1:4
.LBB0_25:
	s_or_b32 exec_lo, exec_lo, s1
	v_and_b32_e32 v20, 7, v39
	s_waitcnt lgkmcnt(0)
	s_barrier
	buffer_gl0_inv
	v_lshrrev_b32_e32 v21, 3, v39
	v_mul_u32_u24_e32 v0, 10, v20
	v_add_nc_u32_e32 v47, 0xc00, v45
	v_add_nc_u32_e32 v48, 0x1000, v45
	;; [unrolled: 1-line block ×3, first 2 shown]
	v_mul_u32_u24_e32 v21, 0x58, v21
	v_lshlrev_b32_e32 v16, 3, v0
	s_clause 0x4
	global_load_dwordx4 v[12:15], v16, s[12:13] offset:48
	global_load_dwordx4 v[8:11], v16, s[12:13] offset:64
	;; [unrolled: 1-line block ×5, first 2 shown]
	v_or_b32_e32 v55, v21, v20
	ds_read_b64 v[36:37], v43
	ds_read_b64 v[34:35], v42
	;; [unrolled: 1-line block ×4, first 2 shown]
	ds_read2_b32 v[53:54], v47 offset0:112 offset1:113
	ds_read2_b64 v[20:23], v48 offset0:16 offset1:104
	ds_read_b64 v[32:33], v41
	ds_read2_b64 v[24:27], v24 offset0:64 offset1:152
	v_lshlrev_b32_e32 v57, 3, v55
	ds_read_b64 v[55:56], v45 offset:7040
	s_waitcnt vmcnt(0) lgkmcnt(0)
	s_barrier
	buffer_gl0_inv
	v_add3_u32 v46, 0, v57, v46
	v_mul_f32_e32 v57, v13, v37
	v_mul_f32_e32 v13, v13, v36
	;; [unrolled: 1-line block ×20, first 2 shown]
	v_fma_f32 v19, v12, v36, -v57
	v_fmac_f32_e32 v13, v12, v37
	v_fma_f32 v12, v14, v34, -v58
	v_fmac_f32_e32 v15, v14, v35
	;; [unrolled: 2-line block ×8, first 2 shown]
	v_fma_f32 v20, v26, v16, -v65
	v_fma_f32 v21, v55, v18, -v17
	v_fmac_f32_e32 v67, v56, v18
	v_fmac_f32_e32 v66, v27, v16
	v_add_f32_e32 v2, v19, v32
	v_add_f32_e32 v16, v13, v33
	;; [unrolled: 1-line block ×3, first 2 shown]
	v_sub_f32_e32 v18, v13, v67
	v_sub_f32_e32 v19, v19, v21
	v_add_f32_e32 v22, v12, v20
	v_sub_f32_e32 v24, v12, v20
	v_add_f32_e32 v2, v2, v12
	v_add_f32_e32 v12, v16, v15
	;; [unrolled: 1-line block ×3, first 2 shown]
	v_sub_f32_e32 v23, v15, v66
	v_sub_f32_e32 v26, v9, v3
	;; [unrolled: 1-line block ×3, first 2 shown]
	v_add_f32_e32 v35, v9, v3
	v_sub_f32_e32 v36, v11, v1
	v_sub_f32_e32 v49, v8, v6
	;; [unrolled: 1-line block ×4, first 2 shown]
	v_mul_f32_e32 v55, 0xbf0a6770, v18
	v_mul_f32_e32 v56, 0xbf0a6770, v19
	;; [unrolled: 1-line block ×8, first 2 shown]
	v_add_f32_e32 v2, v2, v14
	v_add_f32_e32 v9, v12, v9
	v_mul_f32_e32 v18, 0xbe903f40, v18
	v_mul_f32_e32 v19, 0xbe903f40, v19
	v_add_f32_e32 v25, v15, v66
	v_add_f32_e32 v27, v14, v0
	;; [unrolled: 1-line block ×6, first 2 shown]
	v_mul_f32_e32 v63, 0xbf68dda4, v23
	v_mul_f32_e32 v64, 0xbf4178ce, v23
	;; [unrolled: 1-line block ×40, first 2 shown]
	v_fma_f32 v95, 0x3f575c64, v17, -v55
	v_fmamk_f32 v96, v13, 0x3f575c64, v56
	v_fmac_f32_e32 v55, 0x3f575c64, v17
	v_fma_f32 v56, 0x3f575c64, v13, -v56
	v_fma_f32 v97, 0x3ed4b147, v17, -v57
	v_fmamk_f32 v98, v13, 0x3ed4b147, v58
	v_fmac_f32_e32 v57, 0x3ed4b147, v17
	v_fma_f32 v58, 0x3ed4b147, v13, -v58
	v_fma_f32 v99, 0xbe11bafb, v17, -v59
	v_fmamk_f32 v100, v13, 0xbe11bafb, v60
	v_fma_f32 v60, 0xbe11bafb, v13, -v60
	v_fma_f32 v101, 0xbf27a4f4, v17, -v61
	v_fmamk_f32 v102, v13, 0xbf27a4f4, v62
	v_add_f32_e32 v2, v2, v8
	v_add_f32_e32 v8, v9, v11
	v_fmac_f32_e32 v59, 0xbe11bafb, v17
	v_fmac_f32_e32 v61, 0xbf27a4f4, v17
	v_fma_f32 v103, 0xbf75a155, v17, -v18
	v_fmamk_f32 v104, v13, 0xbf75a155, v19
	v_fma_f32 v62, 0xbf27a4f4, v13, -v62
	v_fmac_f32_e32 v18, 0xbf75a155, v17
	v_fma_f32 v13, 0xbf75a155, v13, -v19
	v_fma_f32 v17, 0x3ed4b147, v22, -v63
	v_fmac_f32_e32 v63, 0x3ed4b147, v22
	v_fma_f32 v19, 0xbf27a4f4, v22, -v64
	v_fmac_f32_e32 v64, 0xbf27a4f4, v22
	v_fma_f32 v105, 0xbf75a155, v22, -v65
	v_fmac_f32_e32 v65, 0xbf75a155, v22
	v_fma_f32 v106, 0xbe11bafb, v22, -v68
	v_fmac_f32_e32 v68, 0xbe11bafb, v22
	v_fma_f32 v107, 0x3f575c64, v22, -v23
	v_fmac_f32_e32 v23, 0x3f575c64, v22
	v_fmamk_f32 v22, v25, 0x3ed4b147, v15
	v_fma_f32 v15, 0x3ed4b147, v25, -v15
	v_fmamk_f32 v108, v25, 0xbf27a4f4, v16
	v_fma_f32 v16, 0xbf27a4f4, v25, -v16
	v_fmamk_f32 v109, v25, 0xbf75a155, v69
	v_fma_f32 v69, 0xbf75a155, v25, -v69
	v_fmamk_f32 v110, v25, 0xbe11bafb, v70
	v_fma_f32 v70, 0xbe11bafb, v25, -v70
	v_fmamk_f32 v111, v25, 0x3f575c64, v24
	v_fma_f32 v24, 0x3f575c64, v25, -v24
	v_fma_f32 v25, 0xbe11bafb, v27, -v71
	v_fmac_f32_e32 v71, 0xbe11bafb, v27
	v_fma_f32 v112, 0xbf75a155, v27, -v72
	v_fmac_f32_e32 v72, 0xbf75a155, v27
	v_fma_f32 v113, 0x3ed4b147, v27, -v73
	v_fmac_f32_e32 v73, 0x3ed4b147, v27
	v_fma_f32 v114, 0x3f575c64, v27, -v74
	v_fmac_f32_e32 v74, 0x3f575c64, v27
	v_fma_f32 v115, 0xbf27a4f4, v27, -v26
	v_fmac_f32_e32 v26, 0xbf27a4f4, v27
	v_fmamk_f32 v12, v35, 0xbe11bafb, v75
	v_fma_f32 v14, 0xbe11bafb, v35, -v75
	v_fmamk_f32 v27, v35, 0xbf75a155, v76
	v_fma_f32 v75, 0xbf75a155, v35, -v76
	v_fmamk_f32 v76, v35, 0x3ed4b147, v77
	v_fma_f32 v77, 0x3ed4b147, v35, -v77
	v_fmamk_f32 v116, v35, 0x3f575c64, v78
	v_fma_f32 v78, 0x3f575c64, v35, -v78
	v_fmamk_f32 v117, v35, 0xbf27a4f4, v34
	;; [unrolled: 20-line block ×4, first 2 shown]
	v_fma_f32 v53, 0xbe11bafb, v54, -v53
	v_add_f32_e32 v54, v95, v32
	v_add_f32_e32 v95, v96, v33
	;; [unrolled: 1-line block ×110, first 2 shown]
	ds_write2_b64 v46, v[4:5], v[8:9] offset0:16 offset1:24
	v_add_f32_e32 v4, v20, v21
	v_add_f32_e32 v5, v22, v67
	ds_write2_b64 v46, v[12:13], v[16:17] offset0:32 offset1:40
	ds_write2_b64 v46, v[18:19], v[14:15] offset0:48 offset1:56
	;; [unrolled: 1-line block ×3, first 2 shown]
	ds_write_b64 v46, v[2:3] offset:640
	ds_write2_b64 v46, v[4:5], v[0:1] offset1:8
	s_waitcnt lgkmcnt(0)
	s_barrier
	buffer_gl0_inv
	s_and_saveexec_b32 s0, vcc_lo
	s_cbranch_execz .LBB0_27
; %bb.26:
	v_mul_u32_u24_e32 v0, 10, v39
	v_add_nc_u32_e32 v56, 0x1800, v45
	v_mul_lo_u32 v27, s5, v30
	v_mul_lo_u32 v54, s4, v31
	v_mad_u64_u32 v[34:35], null, s4, v30, 0
	v_lshlrev_b32_e32 v0, 3, v0
	v_add_nc_u32_e32 v57, 0x58, v38
	v_add_nc_u32_e32 v58, 0xb0, v38
	v_add_nc_u32_e32 v60, 0x160, v38
	s_clause 0x4
	global_load_dwordx4 v[2:5], v0, s[12:13] offset:752
	global_load_dwordx4 v[6:9], v0, s[12:13] offset:688
	;; [unrolled: 1-line block ×5, first 2 shown]
	ds_read_b64 v[36:37], v44
	ds_read_b64 v[44:45], v42
	;; [unrolled: 1-line block ×4, first 2 shown]
	ds_read2_b64 v[22:25], v48 offset0:104 offset1:192
	ds_read_b64 v[39:40], v40
	v_mad_u64_u32 v[48:49], null, s2, v38, 0
	ds_read2_b64 v[30:33], v47 offset0:56 offset1:144
	v_lshlrev_b64 v[46:47], 3, v[28:29]
	v_add3_u32 v35, v35, v54, v27
	v_mad_u64_u32 v[50:51], null, s2, v57, 0
	v_mad_u64_u32 v[52:53], null, s2, v58, 0
	v_mov_b32_e32 v26, v49
	v_lshlrev_b64 v[34:35], 3, v[34:35]
	v_add_nc_u32_e32 v59, 0x108, v38
	v_mov_b32_e32 v41, v51
	v_mad_u64_u32 v[54:55], null, s3, v38, v[26:27]
	ds_read2_b64 v[26:29], v56 offset0:24 offset1:112
	v_mov_b32_e32 v51, v53
	v_add_co_u32 v53, vcc_lo, s10, v34
	v_mad_u64_u32 v[55:56], null, s2, v59, 0
	v_mov_b32_e32 v49, v54
	v_add_co_ci_u32_e32 v54, vcc_lo, s11, v35, vcc_lo
	v_lshlrev_b64 v[34:35], 3, v[48:49]
	v_add_co_u32 v48, vcc_lo, v53, v46
	v_add_co_ci_u32_e32 v49, vcc_lo, v54, v47, vcc_lo
	s_waitcnt lgkmcnt(5)
	v_mad_u64_u32 v[46:47], null, s3, v57, v[41:42]
	v_add_co_u32 v34, vcc_lo, v48, v34
	v_add_co_ci_u32_e32 v35, vcc_lo, v49, v35, vcc_lo
	s_waitcnt vmcnt(4) lgkmcnt(0)
	v_mul_f32_e32 v41, v4, v29
	s_waitcnt vmcnt(3)
	v_mul_f32_e32 v47, v6, v43
	v_mul_f32_e32 v43, v7, v43
	;; [unrolled: 1-line block ×3, first 2 shown]
	s_waitcnt vmcnt(2)
	v_mul_f32_e32 v62, v10, v23
	s_waitcnt vmcnt(1)
	v_mul_f32_e32 v63, v16, v40
	v_mul_f32_e32 v53, v2, v27
	;; [unrolled: 1-line block ×11, first 2 shown]
	s_waitcnt vmcnt(0)
	v_mul_f32_e32 v64, v20, v33
	v_mul_f32_e32 v65, v18, v31
	;; [unrolled: 1-line block ×4, first 2 shown]
	v_fmac_f32_e32 v41, v5, v28
	v_fmac_f32_e32 v47, v7, v42
	v_fma_f32 v5, v6, v42, -v43
	v_fma_f32 v28, v28, v4, -v29
	v_fmac_f32_e32 v62, v11, v22
	v_fmac_f32_e32 v63, v17, v39
	;; [unrolled: 1-line block ×4, first 2 shown]
	v_fma_f32 v3, v8, v44, -v45
	v_fma_f32 v26, v26, v2, -v27
	v_fmac_f32_e32 v57, v13, v24
	v_fmac_f32_e32 v61, v15, v36
	v_fma_f32 v2, v14, v36, -v37
	v_fma_f32 v12, v24, v12, -v25
	;; [unrolled: 1-line block ×4, first 2 shown]
	v_fmac_f32_e32 v64, v21, v32
	v_fmac_f32_e32 v65, v19, v30
	v_fma_f32 v7, v18, v30, -v31
	v_fma_f32 v8, v32, v20, -v33
	v_add_f32_e32 v9, v41, v47
	v_sub_f32_e32 v10, v5, v28
	v_add_f32_e32 v16, v62, v63
	v_add_f32_e32 v20, v28, v5
	v_sub_f32_e32 v21, v47, v41
	v_add_f32_e32 v32, v47, v1
	v_add_f32_e32 v5, v5, v0
	;; [unrolled: 1-line block ×3, first 2 shown]
	v_sub_f32_e32 v13, v3, v26
	v_add_f32_e32 v14, v57, v61
	v_sub_f32_e32 v15, v2, v12
	v_sub_f32_e32 v17, v4, v6
	v_add_f32_e32 v18, v64, v65
	v_sub_f32_e32 v19, v7, v8
	v_add_f32_e32 v22, v26, v3
	v_sub_f32_e32 v23, v54, v53
	v_sub_f32_e32 v25, v61, v57
	;; [unrolled: 1-line block ×4, first 2 shown]
	v_mul_f32_e32 v33, 0x3f575c64, v9
	v_mul_f32_e32 v39, 0xbf27a4f4, v16
	;; [unrolled: 1-line block ×11, first 2 shown]
	v_add_f32_e32 v32, v32, v54
	v_add_f32_e32 v3, v5, v3
	;; [unrolled: 1-line block ×5, first 2 shown]
	v_mul_f32_e32 v36, 0x3ed4b147, v11
	v_mul_f32_e32 v37, 0xbe11bafb, v14
	;; [unrolled: 1-line block ×39, first 2 shown]
	v_fmamk_f32 v5, v10, 0x3f0a6770, v33
	v_fmamk_f32 v102, v17, 0x3f4178ce, v39
	;; [unrolled: 1-line block ×9, first 2 shown]
	v_fmac_f32_e32 v76, 0xbe903f40, v10
	v_fmac_f32_e32 v79, 0x3f68dda4, v17
	v_fma_f32 v81, 0xbf75a155, v20, -v81
	v_fma_f32 v134, 0xbf27a4f4, v20, -v91
	v_fmac_f32_e32 v66, 0xbf7d64f0, v10
	v_fmac_f32_e32 v33, 0xbf0a6770, v10
	;; [unrolled: 1-line block ×4, first 2 shown]
	v_fmamk_f32 v17, v9, 0x3ed4b147, v96
	v_add_f32_e32 v32, v32, v61
	v_add_f32_e32 v2, v3, v2
	v_fmamk_f32 v54, v13, 0x3f68dda4, v36
	v_fmamk_f32 v101, v15, 0x3f7d64f0, v37
	;; [unrolled: 1-line block ×21, first 2 shown]
	v_fmac_f32_e32 v77, 0x3f0a6770, v13
	v_fmac_f32_e32 v78, 0xbf4178ce, v15
	;; [unrolled: 1-line block ×3, first 2 shown]
	v_fma_f32 v82, 0x3f575c64, v22, -v82
	v_fma_f32 v83, 0xbf27a4f4, v24, -v83
	;; [unrolled: 1-line block ×4, first 2 shown]
	v_fmamk_f32 v129, v9, 0xbf27a4f4, v86
	v_fmamk_f32 v130, v11, 0xbe11bafb, v87
	v_fmamk_f32 v131, v14, 0x3f575c64, v88
	v_fmamk_f32 v132, v16, 0xbf75a155, v89
	v_fmamk_f32 v133, v18, 0x3ed4b147, v90
	v_fma_f32 v135, 0xbe11bafb, v22, -v92
	v_fma_f32 v10, 0x3f575c64, v24, -v93
	v_fmac_f32_e32 v67, 0x3e903f40, v13
	v_fmac_f32_e32 v36, 0xbf68dda4, v13
	v_fma_f32 v13, 0xbf75a155, v27, -v94
	v_fmac_f32_e32 v68, 0x3f68dda4, v15
	v_fmac_f32_e32 v37, 0xbf7d64f0, v15
	v_fma_f32 v15, 0x3ed4b147, v30, -v95
	v_fmac_f32_e32 v70, 0xbf4178ce, v19
	v_fma_f32 v71, 0xbe11bafb, v20, -v71
	v_fma_f32 v72, 0xbf75a155, v22, -v72
	;; [unrolled: 1-line block ×5, first 2 shown]
	v_fmac_f32_e32 v40, 0xbe903f40, v19
	v_fmamk_f32 v19, v11, 0xbf27a4f4, v97
	v_fmamk_f32 v61, v14, 0xbf75a155, v98
	;; [unrolled: 1-line block ×3, first 2 shown]
	v_fma_f32 v86, 0xbf27a4f4, v9, -v86
	v_fma_f32 v9, 0x3ed4b147, v9, -v96
	v_fmamk_f32 v96, v18, 0x3f575c64, v100
	v_fma_f32 v87, 0xbe11bafb, v11, -v87
	v_fma_f32 v11, 0xbf27a4f4, v11, -v97
	;; [unrolled: 1-line block ×13, first 2 shown]
	v_fmac_f32_e32 v91, 0xbf27a4f4, v20
	v_fmac_f32_e32 v21, 0x3ed4b147, v20
	v_fma_f32 v20, 0x3f575c64, v30, -v31
	v_fma_f32 v43, 0x3ed4b147, v22, -v43
	;; [unrolled: 1-line block ×5, first 2 shown]
	v_fmac_f32_e32 v92, 0xbe11bafb, v22
	v_fmac_f32_e32 v93, 0x3f575c64, v24
	;; [unrolled: 1-line block ×8, first 2 shown]
	v_add_f32_e32 v5, v5, v1
	v_add_f32_e32 v22, v104, v0
	;; [unrolled: 1-line block ×97, first 2 shown]
	v_mad_u64_u32 v[22:23], null, s3, v58, v[51:52]
	v_add_f32_e32 v3, v9, v113
	v_add_f32_e32 v9, v24, v133
	v_mad_u64_u32 v[23:24], null, s2, v60, 0
	v_add_f32_e32 v5, v5, v101
	v_add_f32_e32 v25, v43, v74
	;; [unrolled: 1-line block ×3, first 2 shown]
	v_mov_b32_e32 v51, v46
	v_mov_b32_e32 v53, v22
	v_add_f32_e32 v5, v5, v102
	v_mov_b32_e32 v22, v24
	v_add_f32_e32 v0, v8, v108
	v_add_f32_e32 v8, v10, v15
	;; [unrolled: 1-line block ×5, first 2 shown]
	v_mov_b32_e32 v25, v56
	global_store_dwordx2 v[34:35], v[20:21], off
	v_lshlrev_b64 v[20:21], 3, v[50:51]
	v_add_nc_u32_e32 v31, 0x1b8, v38
	v_mad_u64_u32 v[28:29], null, s3, v60, v[22:23]
	v_add_f32_e32 v1, v5, v103
	v_add_f32_e32 v5, v14, v123
	;; [unrolled: 1-line block ×3, first 2 shown]
	v_mad_u64_u32 v[25:26], null, s3, v59, v[25:26]
	v_mad_u64_u32 v[29:30], null, s2, v31, 0
	v_add_co_u32 v20, vcc_lo, v48, v20
	v_add_f32_e32 v15, v27, v40
	v_add_co_ci_u32_e32 v21, vcc_lo, v49, v21, vcc_lo
	v_lshlrev_b64 v[26:27], 3, v[52:53]
	v_mov_b32_e32 v56, v25
	v_mov_b32_e32 v24, v28
	global_store_dwordx2 v[20:21], v[14:15], off
	v_mov_b32_e32 v14, v30
	v_add_nc_u32_e32 v22, 0x210, v38
	v_add_co_u32 v25, vcc_lo, v48, v26
	v_add_co_ci_u32_e32 v26, vcc_lo, v49, v27, vcc_lo
	v_lshlrev_b64 v[20:21], 3, v[55:56]
	v_mad_u64_u32 v[14:15], null, s3, v31, v[14:15]
	global_store_dwordx2 v[25:26], v[12:13], off
	v_lshlrev_b64 v[12:13], 3, v[23:24]
	v_add_nc_u32_e32 v23, 0x268, v38
	v_add_co_u32 v20, vcc_lo, v48, v20
	v_add_co_ci_u32_e32 v21, vcc_lo, v49, v21, vcc_lo
	v_mov_b32_e32 v30, v14
	v_mad_u64_u32 v[14:15], null, s2, v22, 0
	v_add_co_u32 v12, vcc_lo, v48, v12
	v_add_co_ci_u32_e32 v13, vcc_lo, v49, v13, vcc_lo
	global_store_dwordx2 v[20:21], v[10:11], off
	v_add_nc_u32_e32 v25, 0x2c0, v38
	v_mad_u64_u32 v[10:11], null, s2, v23, 0
	global_store_dwordx2 v[12:13], v[8:9], off
	v_mov_b32_e32 v12, v15
	v_mad_u64_u32 v[20:21], null, s2, v25, 0
	v_lshlrev_b64 v[8:9], 3, v[29:30]
	v_add_nc_u32_e32 v27, 0x318, v38
	v_mad_u64_u32 v[12:13], null, s3, v22, v[12:13]
	v_add_nc_u32_e32 v28, 0x370, v38
	v_add_f32_e32 v17, v36, v90
	v_add_co_u32 v8, vcc_lo, v48, v8
	v_add_co_ci_u32_e32 v9, vcc_lo, v49, v9, vcc_lo
	v_mad_u64_u32 v[22:23], null, s3, v23, v[11:12]
	v_mov_b32_e32 v11, v21
	v_mad_u64_u32 v[23:24], null, s2, v27, 0
	v_mov_b32_e32 v15, v12
	global_store_dwordx2 v[8:9], v[6:7], off
	v_mad_u64_u32 v[25:26], null, s3, v25, v[11:12]
	v_mad_u64_u32 v[12:13], null, s2, v28, 0
	v_lshlrev_b64 v[7:8], 3, v[14:15]
	v_mov_b32_e32 v6, v24
	v_mov_b32_e32 v11, v22
	v_add_f32_e32 v16, v37, v95
	v_mov_b32_e32 v21, v25
	v_mad_u64_u32 v[14:15], null, s3, v27, v[6:7]
	v_mov_b32_e32 v6, v13
	v_add_co_u32 v7, vcc_lo, v48, v7
	v_lshlrev_b64 v[9:10], 3, v[10:11]
	v_lshlrev_b64 v[20:21], 3, v[20:21]
	v_add_co_ci_u32_e32 v8, vcc_lo, v49, v8, vcc_lo
	v_mad_u64_u32 v[25:26], null, s3, v28, v[6:7]
	v_mov_b32_e32 v24, v14
	v_add_co_u32 v9, vcc_lo, v48, v9
	v_add_co_ci_u32_e32 v10, vcc_lo, v49, v10, vcc_lo
	v_lshlrev_b64 v[14:15], 3, v[23:24]
	v_mov_b32_e32 v13, v25
	v_add_co_u32 v20, vcc_lo, v48, v20
	v_add_co_ci_u32_e32 v21, vcc_lo, v49, v21, vcc_lo
	v_lshlrev_b64 v[11:12], 3, v[12:13]
	v_add_co_u32 v13, vcc_lo, v48, v14
	v_add_co_ci_u32_e32 v14, vcc_lo, v49, v15, vcc_lo
	v_add_co_u32 v11, vcc_lo, v48, v11
	v_add_co_ci_u32_e32 v12, vcc_lo, v49, v12, vcc_lo
	global_store_dwordx2 v[7:8], v[4:5], off
	global_store_dwordx2 v[9:10], v[16:17], off
	;; [unrolled: 1-line block ×5, first 2 shown]
.LBB0_27:
	s_endpgm
	.section	.rodata,"a",@progbits
	.p2align	6, 0x0
	.amdhsa_kernel fft_rtc_fwd_len968_factors_2_2_2_11_11_wgs_176_tpt_88_sp_op_CI_CI_sbrr_dirReg
		.amdhsa_group_segment_fixed_size 0
		.amdhsa_private_segment_fixed_size 0
		.amdhsa_kernarg_size 104
		.amdhsa_user_sgpr_count 6
		.amdhsa_user_sgpr_private_segment_buffer 1
		.amdhsa_user_sgpr_dispatch_ptr 0
		.amdhsa_user_sgpr_queue_ptr 0
		.amdhsa_user_sgpr_kernarg_segment_ptr 1
		.amdhsa_user_sgpr_dispatch_id 0
		.amdhsa_user_sgpr_flat_scratch_init 0
		.amdhsa_user_sgpr_private_segment_size 0
		.amdhsa_wavefront_size32 1
		.amdhsa_uses_dynamic_stack 0
		.amdhsa_system_sgpr_private_segment_wavefront_offset 0
		.amdhsa_system_sgpr_workgroup_id_x 1
		.amdhsa_system_sgpr_workgroup_id_y 0
		.amdhsa_system_sgpr_workgroup_id_z 0
		.amdhsa_system_sgpr_workgroup_info 0
		.amdhsa_system_vgpr_workitem_id 0
		.amdhsa_next_free_vgpr 136
		.amdhsa_next_free_sgpr 31
		.amdhsa_reserve_vcc 1
		.amdhsa_reserve_flat_scratch 0
		.amdhsa_float_round_mode_32 0
		.amdhsa_float_round_mode_16_64 0
		.amdhsa_float_denorm_mode_32 3
		.amdhsa_float_denorm_mode_16_64 3
		.amdhsa_dx10_clamp 1
		.amdhsa_ieee_mode 1
		.amdhsa_fp16_overflow 0
		.amdhsa_workgroup_processor_mode 1
		.amdhsa_memory_ordered 1
		.amdhsa_forward_progress 0
		.amdhsa_shared_vgpr_count 0
		.amdhsa_exception_fp_ieee_invalid_op 0
		.amdhsa_exception_fp_denorm_src 0
		.amdhsa_exception_fp_ieee_div_zero 0
		.amdhsa_exception_fp_ieee_overflow 0
		.amdhsa_exception_fp_ieee_underflow 0
		.amdhsa_exception_fp_ieee_inexact 0
		.amdhsa_exception_int_div_zero 0
	.end_amdhsa_kernel
	.text
.Lfunc_end0:
	.size	fft_rtc_fwd_len968_factors_2_2_2_11_11_wgs_176_tpt_88_sp_op_CI_CI_sbrr_dirReg, .Lfunc_end0-fft_rtc_fwd_len968_factors_2_2_2_11_11_wgs_176_tpt_88_sp_op_CI_CI_sbrr_dirReg
                                        ; -- End function
	.section	.AMDGPU.csdata,"",@progbits
; Kernel info:
; codeLenInByte = 9260
; NumSgprs: 33
; NumVgprs: 136
; ScratchSize: 0
; MemoryBound: 0
; FloatMode: 240
; IeeeMode: 1
; LDSByteSize: 0 bytes/workgroup (compile time only)
; SGPRBlocks: 4
; VGPRBlocks: 16
; NumSGPRsForWavesPerEU: 33
; NumVGPRsForWavesPerEU: 136
; Occupancy: 7
; WaveLimiterHint : 1
; COMPUTE_PGM_RSRC2:SCRATCH_EN: 0
; COMPUTE_PGM_RSRC2:USER_SGPR: 6
; COMPUTE_PGM_RSRC2:TRAP_HANDLER: 0
; COMPUTE_PGM_RSRC2:TGID_X_EN: 1
; COMPUTE_PGM_RSRC2:TGID_Y_EN: 0
; COMPUTE_PGM_RSRC2:TGID_Z_EN: 0
; COMPUTE_PGM_RSRC2:TIDIG_COMP_CNT: 0
	.text
	.p2alignl 6, 3214868480
	.fill 48, 4, 3214868480
	.type	__hip_cuid_cf547590f96bdf30,@object ; @__hip_cuid_cf547590f96bdf30
	.section	.bss,"aw",@nobits
	.globl	__hip_cuid_cf547590f96bdf30
__hip_cuid_cf547590f96bdf30:
	.byte	0                               ; 0x0
	.size	__hip_cuid_cf547590f96bdf30, 1

	.ident	"AMD clang version 19.0.0git (https://github.com/RadeonOpenCompute/llvm-project roc-6.4.0 25133 c7fe45cf4b819c5991fe208aaa96edf142730f1d)"
	.section	".note.GNU-stack","",@progbits
	.addrsig
	.addrsig_sym __hip_cuid_cf547590f96bdf30
	.amdgpu_metadata
---
amdhsa.kernels:
  - .args:
      - .actual_access:  read_only
        .address_space:  global
        .offset:         0
        .size:           8
        .value_kind:     global_buffer
      - .offset:         8
        .size:           8
        .value_kind:     by_value
      - .actual_access:  read_only
        .address_space:  global
        .offset:         16
        .size:           8
        .value_kind:     global_buffer
      - .actual_access:  read_only
        .address_space:  global
        .offset:         24
        .size:           8
        .value_kind:     global_buffer
      - .actual_access:  read_only
        .address_space:  global
        .offset:         32
        .size:           8
        .value_kind:     global_buffer
      - .offset:         40
        .size:           8
        .value_kind:     by_value
      - .actual_access:  read_only
        .address_space:  global
        .offset:         48
        .size:           8
        .value_kind:     global_buffer
      - .actual_access:  read_only
        .address_space:  global
        .offset:         56
        .size:           8
        .value_kind:     global_buffer
      - .offset:         64
        .size:           4
        .value_kind:     by_value
      - .actual_access:  read_only
        .address_space:  global
        .offset:         72
        .size:           8
        .value_kind:     global_buffer
      - .actual_access:  read_only
        .address_space:  global
        .offset:         80
        .size:           8
        .value_kind:     global_buffer
      - .actual_access:  read_only
        .address_space:  global
        .offset:         88
        .size:           8
        .value_kind:     global_buffer
      - .actual_access:  write_only
        .address_space:  global
        .offset:         96
        .size:           8
        .value_kind:     global_buffer
    .group_segment_fixed_size: 0
    .kernarg_segment_align: 8
    .kernarg_segment_size: 104
    .language:       OpenCL C
    .language_version:
      - 2
      - 0
    .max_flat_workgroup_size: 176
    .name:           fft_rtc_fwd_len968_factors_2_2_2_11_11_wgs_176_tpt_88_sp_op_CI_CI_sbrr_dirReg
    .private_segment_fixed_size: 0
    .sgpr_count:     33
    .sgpr_spill_count: 0
    .symbol:         fft_rtc_fwd_len968_factors_2_2_2_11_11_wgs_176_tpt_88_sp_op_CI_CI_sbrr_dirReg.kd
    .uniform_work_group_size: 1
    .uses_dynamic_stack: false
    .vgpr_count:     136
    .vgpr_spill_count: 0
    .wavefront_size: 32
    .workgroup_processor_mode: 1
amdhsa.target:   amdgcn-amd-amdhsa--gfx1030
amdhsa.version:
  - 1
  - 2
...

	.end_amdgpu_metadata
